;; amdgpu-corpus repo=ROCm/rocFFT kind=compiled arch=gfx1030 opt=O3
	.text
	.amdgcn_target "amdgcn-amd-amdhsa--gfx1030"
	.amdhsa_code_object_version 6
	.protected	fft_rtc_fwd_len1386_factors_2_7_3_11_3_wgs_231_tpt_231_halfLds_half_op_CI_CI_unitstride_sbrr_R2C_dirReg ; -- Begin function fft_rtc_fwd_len1386_factors_2_7_3_11_3_wgs_231_tpt_231_halfLds_half_op_CI_CI_unitstride_sbrr_R2C_dirReg
	.globl	fft_rtc_fwd_len1386_factors_2_7_3_11_3_wgs_231_tpt_231_halfLds_half_op_CI_CI_unitstride_sbrr_R2C_dirReg
	.p2align	8
	.type	fft_rtc_fwd_len1386_factors_2_7_3_11_3_wgs_231_tpt_231_halfLds_half_op_CI_CI_unitstride_sbrr_R2C_dirReg,@function
fft_rtc_fwd_len1386_factors_2_7_3_11_3_wgs_231_tpt_231_halfLds_half_op_CI_CI_unitstride_sbrr_R2C_dirReg: ; @fft_rtc_fwd_len1386_factors_2_7_3_11_3_wgs_231_tpt_231_halfLds_half_op_CI_CI_unitstride_sbrr_R2C_dirReg
; %bb.0:
	s_clause 0x2
	s_load_dwordx4 s[12:15], s[4:5], 0x0
	s_load_dwordx4 s[8:11], s[4:5], 0x58
	;; [unrolled: 1-line block ×3, first 2 shown]
	v_mul_u32_u24_e32 v1, 0x11c, v0
	v_mov_b32_e32 v3, 0
	v_add_nc_u32_sdwa v5, s6, v1 dst_sel:DWORD dst_unused:UNUSED_PAD src0_sel:DWORD src1_sel:WORD_1
	v_mov_b32_e32 v1, 0
	v_mov_b32_e32 v6, v3
	v_mov_b32_e32 v2, 0
	s_waitcnt lgkmcnt(0)
	v_cmp_lt_u64_e64 s0, s[14:15], 2
	s_and_b32 vcc_lo, exec_lo, s0
	s_cbranch_vccnz .LBB0_8
; %bb.1:
	s_load_dwordx2 s[0:1], s[4:5], 0x10
	v_mov_b32_e32 v1, 0
	v_mov_b32_e32 v2, 0
	s_add_u32 s2, s18, 8
	s_addc_u32 s3, s19, 0
	s_add_u32 s6, s16, 8
	s_addc_u32 s7, s17, 0
	v_mov_b32_e32 v9, v2
	v_mov_b32_e32 v8, v1
	s_mov_b64 s[22:23], 1
	s_waitcnt lgkmcnt(0)
	s_add_u32 s20, s0, 8
	s_addc_u32 s21, s1, 0
.LBB0_2:                                ; =>This Inner Loop Header: Depth=1
	s_load_dwordx2 s[24:25], s[20:21], 0x0
                                        ; implicit-def: $vgpr10_vgpr11
	s_mov_b32 s0, exec_lo
	s_waitcnt lgkmcnt(0)
	v_or_b32_e32 v4, s25, v6
	v_cmpx_ne_u64_e32 0, v[3:4]
	s_xor_b32 s1, exec_lo, s0
	s_cbranch_execz .LBB0_4
; %bb.3:                                ;   in Loop: Header=BB0_2 Depth=1
	v_cvt_f32_u32_e32 v4, s24
	v_cvt_f32_u32_e32 v7, s25
	s_sub_u32 s0, 0, s24
	s_subb_u32 s26, 0, s25
	v_fmac_f32_e32 v4, 0x4f800000, v7
	v_rcp_f32_e32 v4, v4
	v_mul_f32_e32 v4, 0x5f7ffffc, v4
	v_mul_f32_e32 v7, 0x2f800000, v4
	v_trunc_f32_e32 v7, v7
	v_fmac_f32_e32 v4, 0xcf800000, v7
	v_cvt_u32_f32_e32 v7, v7
	v_cvt_u32_f32_e32 v4, v4
	v_mul_lo_u32 v10, s0, v7
	v_mul_hi_u32 v11, s0, v4
	v_mul_lo_u32 v12, s26, v4
	v_add_nc_u32_e32 v10, v11, v10
	v_mul_lo_u32 v11, s0, v4
	v_add_nc_u32_e32 v10, v10, v12
	v_mul_hi_u32 v12, v4, v11
	v_mul_lo_u32 v13, v4, v10
	v_mul_hi_u32 v14, v4, v10
	v_mul_hi_u32 v15, v7, v11
	v_mul_lo_u32 v11, v7, v11
	v_mul_hi_u32 v16, v7, v10
	v_mul_lo_u32 v10, v7, v10
	v_add_co_u32 v12, vcc_lo, v12, v13
	v_add_co_ci_u32_e32 v13, vcc_lo, 0, v14, vcc_lo
	v_add_co_u32 v11, vcc_lo, v12, v11
	v_add_co_ci_u32_e32 v11, vcc_lo, v13, v15, vcc_lo
	v_add_co_ci_u32_e32 v12, vcc_lo, 0, v16, vcc_lo
	v_add_co_u32 v10, vcc_lo, v11, v10
	v_add_co_ci_u32_e32 v11, vcc_lo, 0, v12, vcc_lo
	v_add_co_u32 v4, vcc_lo, v4, v10
	v_add_co_ci_u32_e32 v7, vcc_lo, v7, v11, vcc_lo
	v_mul_hi_u32 v10, s0, v4
	v_mul_lo_u32 v12, s26, v4
	v_mul_lo_u32 v11, s0, v7
	v_add_nc_u32_e32 v10, v10, v11
	v_mul_lo_u32 v11, s0, v4
	v_add_nc_u32_e32 v10, v10, v12
	v_mul_hi_u32 v12, v4, v11
	v_mul_lo_u32 v13, v4, v10
	v_mul_hi_u32 v14, v4, v10
	v_mul_hi_u32 v15, v7, v11
	v_mul_lo_u32 v11, v7, v11
	v_mul_hi_u32 v16, v7, v10
	v_mul_lo_u32 v10, v7, v10
	v_add_co_u32 v12, vcc_lo, v12, v13
	v_add_co_ci_u32_e32 v13, vcc_lo, 0, v14, vcc_lo
	v_add_co_u32 v11, vcc_lo, v12, v11
	v_add_co_ci_u32_e32 v11, vcc_lo, v13, v15, vcc_lo
	v_add_co_ci_u32_e32 v12, vcc_lo, 0, v16, vcc_lo
	v_add_co_u32 v10, vcc_lo, v11, v10
	v_add_co_ci_u32_e32 v11, vcc_lo, 0, v12, vcc_lo
	v_add_co_u32 v4, vcc_lo, v4, v10
	v_add_co_ci_u32_e32 v7, vcc_lo, v7, v11, vcc_lo
	v_mul_hi_u32 v16, v5, v4
	v_mad_u64_u32 v[12:13], null, v6, v4, 0
	v_mad_u64_u32 v[10:11], null, v5, v7, 0
	;; [unrolled: 1-line block ×3, first 2 shown]
	v_add_co_u32 v4, vcc_lo, v16, v10
	v_add_co_ci_u32_e32 v7, vcc_lo, 0, v11, vcc_lo
	v_add_co_u32 v4, vcc_lo, v4, v12
	v_add_co_ci_u32_e32 v4, vcc_lo, v7, v13, vcc_lo
	v_add_co_ci_u32_e32 v7, vcc_lo, 0, v15, vcc_lo
	v_add_co_u32 v4, vcc_lo, v4, v14
	v_add_co_ci_u32_e32 v7, vcc_lo, 0, v7, vcc_lo
	v_mul_lo_u32 v12, s25, v4
	v_mad_u64_u32 v[10:11], null, s24, v4, 0
	v_mul_lo_u32 v13, s24, v7
	v_sub_co_u32 v10, vcc_lo, v5, v10
	v_add3_u32 v11, v11, v13, v12
	v_sub_nc_u32_e32 v12, v6, v11
	v_subrev_co_ci_u32_e64 v12, s0, s25, v12, vcc_lo
	v_add_co_u32 v13, s0, v4, 2
	v_add_co_ci_u32_e64 v14, s0, 0, v7, s0
	v_sub_co_u32 v15, s0, v10, s24
	v_sub_co_ci_u32_e32 v11, vcc_lo, v6, v11, vcc_lo
	v_subrev_co_ci_u32_e64 v12, s0, 0, v12, s0
	v_cmp_le_u32_e32 vcc_lo, s24, v15
	v_cmp_eq_u32_e64 s0, s25, v11
	v_cndmask_b32_e64 v15, 0, -1, vcc_lo
	v_cmp_le_u32_e32 vcc_lo, s25, v12
	v_cndmask_b32_e64 v16, 0, -1, vcc_lo
	v_cmp_le_u32_e32 vcc_lo, s24, v10
	;; [unrolled: 2-line block ×3, first 2 shown]
	v_cndmask_b32_e64 v17, 0, -1, vcc_lo
	v_cmp_eq_u32_e32 vcc_lo, s25, v12
	v_cndmask_b32_e64 v10, v17, v10, s0
	v_cndmask_b32_e32 v12, v16, v15, vcc_lo
	v_add_co_u32 v15, vcc_lo, v4, 1
	v_add_co_ci_u32_e32 v16, vcc_lo, 0, v7, vcc_lo
	v_cmp_ne_u32_e32 vcc_lo, 0, v12
	v_cndmask_b32_e32 v11, v16, v14, vcc_lo
	v_cndmask_b32_e32 v12, v15, v13, vcc_lo
	v_cmp_ne_u32_e32 vcc_lo, 0, v10
	v_cndmask_b32_e32 v11, v7, v11, vcc_lo
	v_cndmask_b32_e32 v10, v4, v12, vcc_lo
.LBB0_4:                                ;   in Loop: Header=BB0_2 Depth=1
	s_andn2_saveexec_b32 s0, s1
	s_cbranch_execz .LBB0_6
; %bb.5:                                ;   in Loop: Header=BB0_2 Depth=1
	v_cvt_f32_u32_e32 v4, s24
	s_sub_i32 s1, 0, s24
	v_rcp_iflag_f32_e32 v4, v4
	v_mul_f32_e32 v4, 0x4f7ffffe, v4
	v_cvt_u32_f32_e32 v4, v4
	v_mul_lo_u32 v7, s1, v4
	v_mul_hi_u32 v7, v4, v7
	v_add_nc_u32_e32 v4, v4, v7
	v_mul_hi_u32 v4, v5, v4
	v_mul_lo_u32 v7, v4, s24
	v_add_nc_u32_e32 v10, 1, v4
	v_sub_nc_u32_e32 v7, v5, v7
	v_subrev_nc_u32_e32 v11, s24, v7
	v_cmp_le_u32_e32 vcc_lo, s24, v7
	v_cndmask_b32_e32 v7, v7, v11, vcc_lo
	v_cndmask_b32_e32 v4, v4, v10, vcc_lo
	v_mov_b32_e32 v11, v3
	v_cmp_le_u32_e32 vcc_lo, s24, v7
	v_add_nc_u32_e32 v10, 1, v4
	v_cndmask_b32_e32 v10, v4, v10, vcc_lo
.LBB0_6:                                ;   in Loop: Header=BB0_2 Depth=1
	s_or_b32 exec_lo, exec_lo, s0
	v_mul_lo_u32 v4, v11, s24
	v_mul_lo_u32 v7, v10, s25
	s_load_dwordx2 s[0:1], s[6:7], 0x0
	v_mad_u64_u32 v[12:13], null, v10, s24, 0
	s_load_dwordx2 s[24:25], s[2:3], 0x0
	s_add_u32 s22, s22, 1
	s_addc_u32 s23, s23, 0
	s_add_u32 s2, s2, 8
	s_addc_u32 s3, s3, 0
	s_add_u32 s6, s6, 8
	v_add3_u32 v4, v13, v7, v4
	v_sub_co_u32 v5, vcc_lo, v5, v12
	s_addc_u32 s7, s7, 0
	s_add_u32 s20, s20, 8
	v_sub_co_ci_u32_e32 v4, vcc_lo, v6, v4, vcc_lo
	s_addc_u32 s21, s21, 0
	s_waitcnt lgkmcnt(0)
	v_mul_lo_u32 v6, s0, v4
	v_mul_lo_u32 v7, s1, v5
	v_mad_u64_u32 v[1:2], null, s0, v5, v[1:2]
	v_mul_lo_u32 v4, s24, v4
	v_mul_lo_u32 v12, s25, v5
	v_mad_u64_u32 v[8:9], null, s24, v5, v[8:9]
	v_cmp_ge_u64_e64 s0, s[22:23], s[14:15]
	v_add3_u32 v2, v7, v2, v6
	v_add3_u32 v9, v12, v9, v4
	s_and_b32 vcc_lo, exec_lo, s0
	s_cbranch_vccnz .LBB0_9
; %bb.7:                                ;   in Loop: Header=BB0_2 Depth=1
	v_mov_b32_e32 v5, v10
	v_mov_b32_e32 v6, v11
	s_branch .LBB0_2
.LBB0_8:
	v_mov_b32_e32 v9, v2
	v_mov_b32_e32 v11, v6
	;; [unrolled: 1-line block ×4, first 2 shown]
.LBB0_9:
	s_load_dwordx2 s[0:1], s[4:5], 0x28
	v_mul_hi_u32 v3, 0x11bb4a5, v0
	s_lshl_b64 s[4:5], s[14:15], 3
                                        ; implicit-def: $vgpr12
                                        ; implicit-def: $vgpr14
                                        ; implicit-def: $vgpr16
	s_add_u32 s2, s18, s4
	s_addc_u32 s3, s19, s5
	s_waitcnt lgkmcnt(0)
	v_cmp_gt_u64_e32 vcc_lo, s[0:1], v[10:11]
	v_cmp_le_u64_e64 s0, s[0:1], v[10:11]
	s_and_saveexec_b32 s1, s0
	s_xor_b32 s0, exec_lo, s1
; %bb.10:
	v_mul_u32_u24_e32 v1, 0xe7, v3
                                        ; implicit-def: $vgpr3
	v_sub_nc_u32_e32 v12, v0, v1
                                        ; implicit-def: $vgpr0
                                        ; implicit-def: $vgpr1_vgpr2
	v_add_nc_u32_e32 v14, 0xe7, v12
	v_add_nc_u32_e32 v16, 0x1ce, v12
; %bb.11:
	s_andn2_saveexec_b32 s1, s0
	s_cbranch_execz .LBB0_13
; %bb.12:
	s_add_u32 s4, s16, s4
	s_addc_u32 s5, s17, s5
	v_lshlrev_b64 v[1:2], 2, v[1:2]
	s_load_dwordx2 s[4:5], s[4:5], 0x0
	s_waitcnt lgkmcnt(0)
	v_mul_lo_u32 v6, s5, v10
	v_mul_lo_u32 v7, s4, v11
	v_mad_u64_u32 v[4:5], null, s4, v10, 0
	v_add3_u32 v5, v5, v7, v6
	v_mul_u32_u24_e32 v6, 0xe7, v3
	v_lshlrev_b64 v[3:4], 2, v[4:5]
	v_sub_nc_u32_e32 v12, v0, v6
	v_lshlrev_b32_e32 v6, 2, v12
	v_add_co_u32 v0, s0, s8, v3
	v_add_co_ci_u32_e64 v3, s0, s9, v4, s0
	v_add_nc_u32_e32 v14, 0xe7, v12
	v_add_co_u32 v0, s0, v0, v1
	v_add_co_ci_u32_e64 v1, s0, v3, v2, s0
	v_add_nc_u32_e32 v16, 0x1ce, v12
	v_add_co_u32 v0, s0, v0, v6
	v_add_co_ci_u32_e64 v1, s0, 0, v1, s0
	v_add_co_u32 v2, s0, 0x800, v0
	v_add_co_ci_u32_e64 v3, s0, 0, v1, s0
	;; [unrolled: 2-line block ×3, first 2 shown]
	s_clause 0x5
	global_load_dword v7, v[0:1], off
	global_load_dword v13, v[0:1], off offset:924
	global_load_dword v0, v[0:1], off offset:1848
	global_load_dword v1, v[2:3], off offset:724
	global_load_dword v2, v[2:3], off offset:1648
	global_load_dword v3, v[4:5], off offset:524
	v_add_nc_u32_e32 v4, 0, v6
	v_add_nc_u32_e32 v5, 0x700, v4
	;; [unrolled: 1-line block ×3, first 2 shown]
	s_waitcnt vmcnt(4)
	ds_write2_b32 v4, v7, v13 offset1:231
	s_waitcnt vmcnt(2)
	ds_write2_b32 v5, v0, v1 offset0:14 offset1:245
	s_waitcnt vmcnt(0)
	ds_write2_b32 v6, v2, v3 offset0:12 offset1:243
.LBB0_13:
	s_or_b32 exec_lo, exec_lo, s1
	v_lshlrev_b32_e32 v13, 2, v12
	s_load_dwordx2 s[2:3], s[2:3], 0x0
	s_waitcnt lgkmcnt(0)
	s_barrier
	buffer_gl0_inv
	v_add_nc_u32_e32 v30, 0, v13
	v_lshl_add_u32 v15, v14, 3, 0
	v_lshl_add_u32 v31, v16, 3, 0
	v_cmp_gt_u32_e64 s0, 0xc6, v12
                                        ; implicit-def: $vgpr22
                                        ; implicit-def: $vgpr21
	v_add_nc_u32_e32 v0, 0x700, v30
	v_add_nc_u32_e32 v1, 0xe40, v30
	;; [unrolled: 1-line block ×3, first 2 shown]
	ds_read2_b32 v[6:7], v30 offset1:231
	ds_read2_b32 v[2:3], v0 offset0:14 offset1:245
	ds_read2_b32 v[4:5], v1 offset0:12 offset1:243
	s_waitcnt lgkmcnt(0)
	s_barrier
	buffer_gl0_inv
	v_pk_add_f16 v1, v6, v3 neg_lo:[0,1] neg_hi:[0,1]
	v_pk_add_f16 v3, v2, v5 neg_lo:[0,1] neg_hi:[0,1]
	;; [unrolled: 1-line block ×3, first 2 shown]
	v_pk_fma_f16 v0, v6, 2.0, v1 op_sel_hi:[1,0,1] neg_lo:[0,0,1] neg_hi:[0,0,1]
	v_pk_fma_f16 v2, v2, 2.0, v3 op_sel_hi:[1,0,1] neg_lo:[0,0,1] neg_hi:[0,0,1]
	;; [unrolled: 1-line block ×3, first 2 shown]
	v_lshrrev_b32_e32 v7, 16, v1
	v_lshrrev_b32_e32 v17, 16, v5
	v_lshrrev_b32_e32 v18, 16, v3
	ds_write2_b32 v19, v0, v1 offset1:1
	v_lshrrev_b32_e32 v19, 16, v4
	v_lshrrev_b32_e32 v20, 16, v2
	ds_write2_b32 v15, v4, v5 offset1:1
	ds_write2_b32 v31, v2, v3 offset1:1
	s_waitcnt lgkmcnt(0)
	s_barrier
	buffer_gl0_inv
	s_and_saveexec_b32 s1, s0
	s_cbranch_execz .LBB0_15
; %bb.14:
	v_add_nc_u32_e32 v2, 0x600, v30
	v_add_nc_u32_e32 v3, 0xc00, v30
	ds_read2_b32 v[0:1], v30 offset1:198
	ds_read2_b32 v[4:5], v2 offset0:12 offset1:210
	ds_read2_b32 v[2:3], v3 offset0:24 offset1:222
	ds_read_b32 v21, v30 offset:4752
	s_waitcnt lgkmcnt(3)
	v_lshrrev_b32_e32 v7, 16, v1
	s_waitcnt lgkmcnt(2)
	v_lshrrev_b32_e32 v19, 16, v4
	v_lshrrev_b32_e32 v17, 16, v5
	s_waitcnt lgkmcnt(1)
	v_lshrrev_b32_e32 v20, 16, v2
	;; [unrolled: 3-line block ×3, first 2 shown]
.LBB0_15:
	s_or_b32 exec_lo, exec_lo, s1
	v_and_b32_e32 v6, 1, v12
	v_mul_u32_u24_e32 v23, 6, v6
	v_lshlrev_b32_e32 v27, 2, v23
	s_clause 0x1
	global_load_dwordx4 v[23:26], v27, s[12:13]
	global_load_dwordx2 v[27:28], v27, s[12:13] offset:16
	s_waitcnt vmcnt(0)
	s_barrier
	buffer_gl0_inv
	v_mul_f16_sdwa v29, v7, v23 dst_sel:DWORD dst_unused:UNUSED_PAD src0_sel:DWORD src1_sel:WORD_1
	v_mul_f16_sdwa v32, v1, v23 dst_sel:DWORD dst_unused:UNUSED_PAD src0_sel:DWORD src1_sel:WORD_1
	;; [unrolled: 1-line block ×12, first 2 shown]
	v_fma_f16 v1, v1, v23, -v29
	v_fmac_f16_e32 v32, v7, v23
	v_fma_f16 v7, v4, v24, -v33
	v_fmac_f16_e32 v34, v19, v24
	;; [unrolled: 2-line block ×6, first 2 shown]
	v_add_f16_e32 v5, v1, v4
	v_add_f16_e32 v20, v32, v42
	;; [unrolled: 1-line block ×4, first 2 shown]
	v_sub_f16_e32 v24, v1, v4
	v_sub_f16_e32 v4, v32, v42
	v_sub_f16_e32 v26, v7, v3
	v_sub_f16_e32 v7, v34, v40
	v_add_f16_e32 v1, v19, v2
	v_add_f16_e32 v3, v36, v38
	v_sub_f16_e32 v2, v2, v19
	v_sub_f16_e32 v17, v38, v36
	v_add_f16_e32 v19, v18, v5
	v_add_f16_e32 v21, v23, v20
	v_sub_f16_e32 v22, v5, v1
	v_sub_f16_e32 v27, v20, v3
	;; [unrolled: 4-line block ×3, first 2 shown]
	v_sub_f16_e32 v2, v24, v2
	v_sub_f16_e32 v17, v4, v17
	v_add_f16_e32 v19, v1, v19
	v_add_f16_e32 v40, v3, v21
	v_sub_f16_e32 v36, v1, v18
	v_sub_f16_e32 v37, v3, v23
	v_add_f16_e32 v39, v29, v24
	v_mul_f16_e32 v29, 0x3a52, v22
	v_mul_f16_e32 v34, 0x3a52, v27
	;; [unrolled: 1-line block ×4, first 2 shown]
	v_add_f16_e32 v1, v0, v19
	v_add_f16_sdwa v0, v0, v40 dst_sel:DWORD dst_unused:UNUSED_PAD src0_sel:WORD_1 src1_sel:DWORD
	v_add_f16_e32 v38, v32, v4
	v_fmamk_f16 v17, v36, 0x2b26, v29
	v_fmamk_f16 v22, v37, 0x2b26, v34
	;; [unrolled: 1-line block ×6, first 2 shown]
	v_fmac_f16_e32 v2, 0x370e, v39
	v_fmac_f16_e32 v3, 0x370e, v38
	v_add_f16_e32 v19, v17, v21
	v_add_f16_e32 v22, v22, v27
	v_sub_f16_e32 v17, v19, v3
	v_add_f16_e32 v32, v2, v22
	s_and_saveexec_b32 s1, s0
	s_cbranch_execz .LBB0_17
; %bb.16:
	v_sub_f16_e32 v5, v18, v5
	v_sub_f16_e32 v4, v7, v4
	v_mul_f16_e32 v25, 0xb846, v25
	v_mul_f16_e32 v36, 0x2b26, v36
	v_mul_f16_e32 v37, 0x2b26, v37
	v_sub_f16_e32 v24, v26, v24
	v_sub_f16_e32 v20, v23, v20
	v_mul_f16_e32 v18, 0xb846, v28
	v_fma_f16 v28, v5, 0xb9e0, -v29
	v_fma_f16 v29, v4, 0xbb00, -v33
	;; [unrolled: 1-line block ×3, first 2 shown]
	v_lshrrev_b32_e32 v25, 1, v12
	v_mul_f16_e32 v39, 0x370e, v39
	v_mul_f16_e32 v26, 0x370e, v38
	v_fma_f16 v23, v24, 0xbb00, -v35
	v_fma_f16 v7, v20, 0xb9e0, -v34
	;; [unrolled: 1-line block ×5, first 2 shown]
	v_mul_u32_u24_e32 v25, 14, v25
	v_add_f16_e32 v23, v39, v23
	v_add_f16_e32 v7, v7, v27
	;; [unrolled: 1-line block ×8, first 2 shown]
	v_or_b32_e32 v6, v25, v6
	v_sub_f16_e32 v2, v22, v2
	v_add_f16_e32 v3, v3, v19
	v_add_f16_e32 v21, v23, v7
	v_sub_f16_e32 v27, v20, v18
	v_add_f16_e32 v29, v4, v5
	v_add_f16_e32 v18, v18, v20
	v_sub_f16_e32 v7, v7, v23
	v_add_f16_e32 v19, v24, v28
	v_sub_f16_e32 v4, v5, v4
	v_sub_f16_e32 v26, v28, v24
	v_lshl_add_u32 v5, v6, 2, 0
	v_perm_b32 v0, v0, v1, 0x5040100
	v_pack_b32_f16 v1, v3, v2
	v_pack_b32_f16 v2, v19, v7
	;; [unrolled: 1-line block ×5, first 2 shown]
	v_perm_b32 v7, v32, v17, 0x5040100
	ds_write2_b32 v5, v0, v1 offset1:2
	ds_write2_b32 v5, v2, v3 offset0:4 offset1:6
	ds_write2_b32 v5, v4, v6 offset0:8 offset1:10
	ds_write_b32 v5, v7 offset:48
.LBB0_17:
	s_or_b32 exec_lo, exec_lo, s1
	v_lshrrev_b16 v0, 1, v12
	v_lshrrev_b16 v1, 1, v14
	v_mov_b32_e32 v2, 0x4925
	s_waitcnt lgkmcnt(0)
	s_barrier
	v_and_b32_e32 v0, 0x7f, v0
	buffer_gl0_inv
	v_mul_u32_u24_sdwa v1, v1, v2 dst_sel:DWORD dst_unused:UNUSED_PAD src0_sel:WORD_0 src1_sel:DWORD
	v_mov_b32_e32 v2, 3
	v_add_nc_u32_e32 v18, 0xa80, v30
	v_mul_lo_u16 v3, 0x93, v0
	v_mov_b32_e32 v27, 0xa8
	v_lshrrev_b32_e32 v20, 17, v1
	v_mov_b32_e32 v28, 2
	v_cmp_gt_u32_e64 s0, 0x7e, v12
	v_lshrrev_b16 v7, 10, v3
                                        ; implicit-def: $vgpr42
                                        ; implicit-def: $vgpr44
                                        ; implicit-def: $vgpr43
                                        ; implicit-def: $vgpr45
	v_mul_lo_u16 v3, v20, 14
	v_mul_u32_u24_e32 v20, 0xa8, v20
	v_mul_lo_u16 v1, v7, 14
	v_mul_u32_u24_sdwa v7, v7, v27 dst_sel:DWORD dst_unused:UNUSED_PAD src0_sel:WORD_0 src1_sel:DWORD
	v_sub_nc_u16 v22, v14, v3
	v_sub_nc_u16 v21, v12, v1
	v_lshlrev_b32_sdwa v1, v2, v21 dst_sel:DWORD dst_unused:UNUSED_PAD src0_sel:DWORD src1_sel:BYTE_0
	v_lshlrev_b32_sdwa v2, v2, v22 dst_sel:DWORD dst_unused:UNUSED_PAD src0_sel:DWORD src1_sel:WORD_0
	v_lshlrev_b32_sdwa v22, v28, v22 dst_sel:DWORD dst_unused:UNUSED_PAD src0_sel:DWORD src1_sel:WORD_0
	v_lshlrev_b32_sdwa v21, v28, v21 dst_sel:DWORD dst_unused:UNUSED_PAD src0_sel:DWORD src1_sel:BYTE_0
	s_clause 0x1
	global_load_dwordx2 v[3:4], v1, s[12:13] offset:48
	global_load_dwordx2 v[5:6], v2, s[12:13] offset:48
	v_lshlrev_b32_e32 v1, 2, v14
	v_lshlrev_b32_e32 v2, 2, v16
	v_add3_u32 v34, 0, v20, v22
	v_add3_u32 v7, 0, v7, v21
	v_sub_nc_u32_e32 v23, v15, v1
	v_sub_nc_u32_e32 v24, v31, v2
	ds_read2_b32 v[18:19], v18 offset0:21 offset1:252
	ds_read_b32 v23, v23
	ds_read_b32 v25, v24
	ds_read_b32 v26, v30 offset:4620
	ds_read_b32 v24, v30
	ds_read_u16 v36, v30 offset:2
	s_waitcnt vmcnt(0) lgkmcnt(0)
	s_barrier
	buffer_gl0_inv
	v_lshrrev_b32_e32 v27, 16, v19
	v_lshrrev_b32_e32 v29, 16, v18
	;; [unrolled: 1-line block ×5, first 2 shown]
	v_mul_f16_sdwa v20, v3, v33 dst_sel:DWORD dst_unused:UNUSED_PAD src0_sel:WORD_1 src1_sel:DWORD
	v_mul_f16_sdwa v21, v3, v25 dst_sel:DWORD dst_unused:UNUSED_PAD src0_sel:WORD_1 src1_sel:DWORD
	v_mul_f16_sdwa v22, v4, v27 dst_sel:DWORD dst_unused:UNUSED_PAD src0_sel:WORD_1 src1_sel:DWORD
	v_mul_f16_sdwa v35, v4, v19 dst_sel:DWORD dst_unused:UNUSED_PAD src0_sel:WORD_1 src1_sel:DWORD
	v_mul_f16_sdwa v38, v5, v29 dst_sel:DWORD dst_unused:UNUSED_PAD src0_sel:WORD_1 src1_sel:DWORD
	v_mul_f16_sdwa v39, v5, v18 dst_sel:DWORD dst_unused:UNUSED_PAD src0_sel:WORD_1 src1_sel:DWORD
	v_mul_f16_sdwa v40, v6, v28 dst_sel:DWORD dst_unused:UNUSED_PAD src0_sel:WORD_1 src1_sel:DWORD
	v_mul_f16_sdwa v41, v6, v26 dst_sel:DWORD dst_unused:UNUSED_PAD src0_sel:WORD_1 src1_sel:DWORD
	v_fma_f16 v20, v3, v25, -v20
	v_fmac_f16_e32 v21, v3, v33
	v_fma_f16 v3, v4, v19, -v22
	v_fmac_f16_e32 v35, v4, v27
	;; [unrolled: 2-line block ×4, first 2 shown]
	v_add_f16_e32 v18, v20, v3
	v_sub_f16_e32 v19, v21, v35
	v_add_f16_e32 v22, v36, v21
	v_add_f16_e32 v21, v21, v35
	;; [unrolled: 1-line block ×5, first 2 shown]
	v_sub_f16_e32 v26, v20, v3
	v_add_f16_e32 v25, v23, v4
	v_sub_f16_e32 v28, v39, v41
	v_add_f16_e32 v29, v37, v39
	v_sub_f16_e32 v4, v4, v5
	v_fmac_f16_e32 v24, -0.5, v18
	v_fmac_f16_e32 v36, -0.5, v21
	;; [unrolled: 1-line block ×4, first 2 shown]
	v_add_f16_e32 v20, v6, v3
	v_add_f16_e32 v35, v22, v35
	v_fmamk_f16 v21, v19, 0x3aee, v24
	v_fmamk_f16 v39, v26, 0xbaee, v36
	;; [unrolled: 1-line block ×4, first 2 shown]
	v_fmac_f16_e32 v24, 0xbaee, v19
	v_fmac_f16_e32 v36, 0x3aee, v26
	v_add_f16_e32 v25, v25, v5
	v_add_f16_e32 v38, v29, v41
	v_fmac_f16_e32 v23, 0xbaee, v28
	v_fmac_f16_e32 v37, 0x3aee, v4
	v_pack_b32_f16 v3, v20, v35
	v_pack_b32_f16 v5, v21, v39
	;; [unrolled: 1-line block ×6, first 2 shown]
	ds_write2_b32 v7, v3, v5 offset1:14
	ds_write_b32 v7, v6 offset:112
	ds_write2_b32 v34, v4, v18 offset1:14
	ds_write_b32 v34, v19 offset:112
	s_waitcnt lgkmcnt(0)
	s_barrier
	buffer_gl0_inv
                                        ; implicit-def: $vgpr41
                                        ; implicit-def: $vgpr27
	s_and_saveexec_b32 s1, s0
	s_cbranch_execz .LBB0_19
; %bb.18:
	v_add_nc_u32_e32 v3, 0xe00, v30
	v_add_nc_u32_e32 v4, 0x200, v30
	;; [unrolled: 1-line block ×3, first 2 shown]
	ds_read2_b32 v[20:21], v30 offset1:126
	ds_read_b32 v41, v30 offset:5040
	ds_read2_b32 v[26:27], v3 offset0:112 offset1:238
	v_add_nc_u32_e32 v3, 0xa00, v30
	ds_read2_b32 v[24:25], v4 offset0:124 offset1:250
	ds_read2_b32 v[22:23], v5 offset0:120 offset1:246
	;; [unrolled: 1-line block ×3, first 2 shown]
	s_waitcnt lgkmcnt(5)
	v_lshrrev_b32_e32 v35, 16, v20
	s_waitcnt lgkmcnt(4)
	v_lshrrev_b32_e32 v42, 16, v41
	v_lshrrev_b32_e32 v39, 16, v21
	s_waitcnt lgkmcnt(3)
	v_lshrrev_b32_e32 v43, 16, v26
	;; [unrolled: 3-line block ×5, first 2 shown]
	v_lshrrev_b32_e32 v45, 16, v18
.LBB0_19:
	s_or_b32 exec_lo, exec_lo, s1
	v_lshlrev_b32_e32 v19, 1, v14
	v_sub_nc_u32_e32 v34, 0, v2
	v_sub_nc_u32_e32 v33, 0, v1
	s_barrier
	buffer_gl0_inv
	s_and_saveexec_b32 s1, s0
	s_cbranch_execz .LBB0_21
; %bb.20:
	v_mul_lo_u16 v0, v0, 49
	v_mov_b32_e32 v1, 10
	v_mov_b32_e32 v49, 2
	v_mov_b32_e32 v48, 0x738
	v_lshrrev_b16 v46, 10, v0
	v_mul_lo_u16 v0, v46, 42
	v_mul_u32_u24_sdwa v46, v46, v48 dst_sel:DWORD dst_unused:UNUSED_PAD src0_sel:WORD_0 src1_sel:DWORD
	v_sub_nc_u16 v47, v12, v0
	v_mul_u32_u24_sdwa v0, v47, v1 dst_sel:DWORD dst_unused:UNUSED_PAD src0_sel:BYTE_0 src1_sel:DWORD
	v_lshlrev_b32_sdwa v47, v49, v47 dst_sel:DWORD dst_unused:UNUSED_PAD src0_sel:DWORD src1_sel:BYTE_0
	v_lshlrev_b32_e32 v0, 2, v0
	v_add3_u32 v46, 0, v46, v47
	s_clause 0x2
	global_load_dwordx4 v[4:7], v0, s[12:13] offset:160
	global_load_dwordx2 v[28:29], v0, s[12:13] offset:192
	global_load_dwordx4 v[0:3], v0, s[12:13] offset:176
	v_add_nc_u32_e32 v47, 0x200, v46
	v_add_nc_u32_e32 v48, 0x400, v46
	s_waitcnt vmcnt(2)
	v_mul_f16_sdwa v49, v39, v4 dst_sel:DWORD dst_unused:UNUSED_PAD src0_sel:DWORD src1_sel:WORD_1
	s_waitcnt vmcnt(1)
	v_mul_f16_sdwa v50, v42, v29 dst_sel:DWORD dst_unused:UNUSED_PAD src0_sel:DWORD src1_sel:WORD_1
	v_mul_f16_sdwa v52, v21, v4 dst_sel:DWORD dst_unused:UNUSED_PAD src0_sel:DWORD src1_sel:WORD_1
	;; [unrolled: 1-line block ×7, first 2 shown]
	s_waitcnt vmcnt(0)
	v_mul_f16_sdwa v58, v43, v3 dst_sel:DWORD dst_unused:UNUSED_PAD src0_sel:DWORD src1_sel:WORD_1
	v_mul_f16_sdwa v60, v25, v6 dst_sel:DWORD dst_unused:UNUSED_PAD src0_sel:DWORD src1_sel:WORD_1
	;; [unrolled: 1-line block ×6, first 2 shown]
	v_fma_f16 v21, v21, v4, -v49
	v_fma_f16 v41, v41, v29, -v50
	v_fmac_f16_e32 v52, v39, v4
	v_mul_f16_sdwa v59, v26, v3 dst_sel:DWORD dst_unused:UNUSED_PAD src0_sel:DWORD src1_sel:WORD_1
	v_mul_f16_sdwa v61, v40, v7 dst_sel:DWORD dst_unused:UNUSED_PAD src0_sel:DWORD src1_sel:WORD_1
	;; [unrolled: 1-line block ×4, first 2 shown]
	v_fma_f16 v4, v24, v5, -v53
	v_fma_f16 v24, v27, v28, -v54
	v_fmac_f16_e32 v56, v36, v5
	v_fma_f16 v5, v25, v6, -v57
	v_fma_f16 v25, v26, v3, -v58
	v_fmac_f16_e32 v60, v38, v6
	v_fma_f16 v6, v18, v2, -v62
	v_fmac_f16_e32 v63, v45, v2
	;; [unrolled: 2-line block ×3, first 2 shown]
	v_sub_f16_e32 v0, v21, v41
	v_add_f16_e32 v26, v21, v41
	v_add_f16_e32 v21, v20, v21
	v_add_f16_e32 v37, v35, v52
	v_mul_f16_sdwa v55, v27, v28 dst_sel:DWORD dst_unused:UNUSED_PAD src0_sel:DWORD src1_sel:WORD_1
	v_mul_f16_sdwa v67, v17, v1 dst_sel:DWORD dst_unused:UNUSED_PAD src0_sel:DWORD src1_sel:WORD_1
	v_fmac_f16_e32 v51, v42, v29
	v_fmac_f16_e32 v59, v43, v3
	v_fma_f16 v3, v22, v7, -v61
	v_fmac_f16_e32 v64, v40, v7
	v_fma_f16 v7, v17, v1, -v66
	v_sub_f16_e32 v17, v4, v24
	v_add_f16_e32 v39, v4, v24
	v_add_f16_e32 v37, v37, v56
	;; [unrolled: 1-line block ×3, first 2 shown]
	v_fmac_f16_e32 v55, v44, v28
	v_fmac_f16_e32 v67, v32, v1
	v_sub_f16_e32 v27, v52, v51
	v_add_f16_e32 v37, v37, v60
	v_add_f16_e32 v4, v4, v5
	;; [unrolled: 1-line block ×3, first 2 shown]
	v_sub_f16_e32 v22, v5, v25
	v_sub_f16_e32 v28, v3, v6
	;; [unrolled: 1-line block ×7, first 2 shown]
	v_mul_f16_e32 v50, 0xb482, v0
	v_mul_f16_e32 v54, 0xb482, v27
	;; [unrolled: 1-line block ×10, first 2 shown]
	v_add_f16_e32 v44, v3, v6
	v_add_f16_e32 v3, v4, v3
	;; [unrolled: 1-line block ×9, first 2 shown]
	v_mul_f16_e32 v52, 0x3853, v17
	v_mul_f16_e32 v53, 0xba0c, v22
	;; [unrolled: 1-line block ×40, first 2 shown]
	v_fmamk_f16 v97, v1, 0xbbad, v50
	v_fma_f16 v99, v26, 0xbbad, -v54
	v_fmamk_f16 v100, v1, 0xb93d, v57
	v_fma_f16 v102, v26, 0xb93d, -v62
	;; [unrolled: 2-line block ×3, first 2 shown]
	v_fma_f16 v106, v26, 0x36a6, -v73
	v_fma_f16 v107, v26, 0x3abb, -v27
	v_fmac_f16_e32 v54, 0xbbad, v26
	v_fmac_f16_e32 v62, 0xb93d, v26
	;; [unrolled: 1-line block ×5, first 2 shown]
	v_fmamk_f16 v26, v1, 0x36a6, v71
	v_fma_f16 v50, v1, 0xbbad, -v50
	v_fma_f16 v57, v1, 0xb93d, -v57
	v_fmamk_f16 v109, v1, 0x3abb, v0
	v_fma_f16 v65, v1, 0xb08e, -v65
	v_fma_f16 v71, v1, 0x36a6, -v71
	v_add_f16_e32 v2, v3, v2
	v_add_f16_e32 v3, v4, v68
	v_fmamk_f16 v98, v18, 0x3abb, v52
	v_fmamk_f16 v101, v18, 0xb08e, v58
	;; [unrolled: 1-line block ×4, first 2 shown]
	v_fma_f16 v0, v1, 0x3abb, -v0
	v_fmamk_f16 v1, v18, 0x36a6, v17
	v_fma_f16 v52, v18, 0x3abb, -v52
	v_fma_f16 v58, v18, 0xb08e, -v58
	;; [unrolled: 1-line block ×5, first 2 shown]
	v_fmamk_f16 v18, v23, 0xb93d, v53
	v_fma_f16 v53, v23, 0xb93d, -v53
	v_fmamk_f16 v110, v23, 0x3abb, v61
	v_fma_f16 v61, v23, 0x3abb, -v61
	;; [unrolled: 2-line block ×15, first 2 shown]
	v_fma_f16 v36, v39, 0x3abb, -v21
	v_fmac_f16_e32 v21, 0x3abb, v39
	v_fma_f16 v122, v39, 0xb08e, -v56
	v_fmac_f16_e32 v56, 0xb08e, v39
	;; [unrolled: 2-line block ×20, first 2 shown]
	v_add_f16_e32 v49, v20, v99
	v_add_f16_e32 v99, v20, v102
	;; [unrolled: 1-line block ×110, first 2 shown]
	v_pack_b32_f16 v24, v28, v26
	v_pack_b32_f16 v23, v27, v23
	;; [unrolled: 1-line block ×11, first 2 shown]
	ds_write2_b32 v46, v24, v23 offset0:84 offset1:126
	ds_write2_b32 v46, v20, v5 offset0:168 offset1:210
	;; [unrolled: 1-line block ×4, first 2 shown]
	ds_write2_b32 v46, v2, v1 offset1:42
	ds_write_b32 v46, v0 offset:1680
.LBB0_21:
	s_or_b32 exec_lo, exec_lo, s1
	v_lshlrev_b32_e32 v0, 1, v12
	v_mov_b32_e32 v1, 0
	s_waitcnt lgkmcnt(0)
	s_barrier
	buffer_gl0_inv
	v_add_nc_u32_e32 v17, 0xa80, v30
	v_lshlrev_b64 v[2:3], 2, v[0:1]
	v_mov_b32_e32 v20, v1
	v_add_nc_u32_e32 v0, v31, v34
	s_add_u32 s1, s12, 0x15a0
	s_addc_u32 s4, s13, 0
	s_mov_b32 s5, exec_lo
	v_add_co_u32 v2, s0, s12, v2
	v_lshlrev_b64 v[4:5], 2, v[19:20]
	v_add_co_ci_u32_e64 v3, s0, s13, v3, s0
	global_load_dwordx2 v[6:7], v[2:3], off offset:1840
	v_add_co_u32 v2, s0, s12, v4
	v_add_co_ci_u32_e64 v3, s0, s13, v5, s0
	ds_read_b32 v5, v30
	global_load_dwordx2 v[3:4], v[2:3], off offset:1840
	v_add_nc_u32_e32 v2, v15, v33
	ds_read_b32 v15, v0
	ds_read2_b32 v[17:18], v17 offset0:21 offset1:252
	ds_read_b32 v19, v2
	ds_read_b32 v20, v30 offset:4620
	s_waitcnt vmcnt(0) lgkmcnt(0)
	s_barrier
	buffer_gl0_inv
	v_lshrrev_b32_e32 v21, 16, v5
	v_lshrrev_b32_e32 v22, 16, v15
	;; [unrolled: 1-line block ×6, first 2 shown]
	v_mul_f16_sdwa v26, v6, v22 dst_sel:DWORD dst_unused:UNUSED_PAD src0_sel:WORD_1 src1_sel:DWORD
	v_mul_f16_sdwa v27, v6, v15 dst_sel:DWORD dst_unused:UNUSED_PAD src0_sel:WORD_1 src1_sel:DWORD
	;; [unrolled: 1-line block ×4, first 2 shown]
	v_fma_f16 v15, v6, v15, -v26
	v_fmac_f16_e32 v27, v6, v22
	v_fma_f16 v6, v7, v18, -v28
	v_mul_f16_sdwa v18, v3, v25 dst_sel:DWORD dst_unused:UNUSED_PAD src0_sel:WORD_1 src1_sel:DWORD
	v_mul_f16_sdwa v22, v3, v17 dst_sel:DWORD dst_unused:UNUSED_PAD src0_sel:WORD_1 src1_sel:DWORD
	;; [unrolled: 1-line block ×4, first 2 shown]
	v_fmac_f16_e32 v31, v7, v23
	v_fma_f16 v7, v3, v17, -v18
	v_fmac_f16_e32 v22, v3, v25
	v_fma_f16 v3, v4, v20, -v26
	v_fmac_f16_e32 v28, v4, v29
	v_add_f16_e32 v4, v15, v5
	v_add_f16_e32 v20, v27, v21
	;; [unrolled: 1-line block ×4, first 2 shown]
	v_sub_f16_e32 v15, v15, v6
	v_add_f16_e32 v4, v4, v6
	v_add_f16_e32 v6, v20, v31
	v_fmac_f16_e32 v21, -0.5, v23
	v_add_f16_e32 v20, v7, v3
	v_sub_f16_e32 v23, v22, v28
	v_add_f16_e32 v25, v24, v22
	v_add_f16_e32 v22, v22, v28
	v_sub_f16_e32 v18, v27, v31
	v_fma_f16 v5, -0.5, v17, v5
	v_add_f16_e32 v17, v19, v7
	v_sub_f16_e32 v7, v7, v3
	v_fmac_f16_e32 v19, -0.5, v20
	v_fmac_f16_e32 v24, -0.5, v22
	v_fmamk_f16 v26, v18, 0x3aee, v5
	v_fmac_f16_e32 v5, 0xbaee, v18
	v_fmamk_f16 v18, v15, 0xbaee, v21
	v_pack_b32_f16 v4, v4, v6
	v_fmac_f16_e32 v21, 0x3aee, v15
	v_add_f16_e32 v3, v17, v3
	v_add_f16_e32 v15, v25, v28
	v_fmamk_f16 v6, v23, 0x3aee, v19
	v_fmamk_f16 v17, v7, 0xbaee, v24
	v_fmac_f16_e32 v19, 0xbaee, v23
	v_fmac_f16_e32 v24, 0x3aee, v7
	ds_write_b32 v30, v4
	v_pack_b32_f16 v4, v26, v18
	v_pack_b32_f16 v5, v5, v21
	;; [unrolled: 1-line block ×5, first 2 shown]
	ds_write_b32 v30, v4 offset:1848
	ds_write_b32 v30, v5 offset:3696
	ds_write_b32 v2, v3
	ds_write_b32 v2, v6 offset:1848
	ds_write_b32 v2, v7 offset:3696
	s_waitcnt lgkmcnt(0)
	s_barrier
	buffer_gl0_inv
	ds_read_b32 v7, v30
	v_sub_nc_u32_e32 v3, 0, v13
                                        ; implicit-def: $vgpr6
                                        ; implicit-def: $vgpr4
                                        ; implicit-def: $vgpr5
	v_cmpx_ne_u32_e32 0, v12
	s_xor_b32 s5, exec_lo, s5
	s_cbranch_execz .LBB0_23
; %bb.22:
	v_mov_b32_e32 v13, v1
	v_lshlrev_b64 v[4:5], 2, v[12:13]
	v_add_co_u32 v4, s0, s1, v4
	v_add_co_ci_u32_e64 v5, s0, s4, v5, s0
	global_load_dword v1, v[4:5], off
	ds_read_b32 v4, v3 offset:5544
	s_waitcnt lgkmcnt(0)
	v_pk_add_f16 v5, v7, v4 neg_lo:[0,1] neg_hi:[0,1]
	v_pk_add_f16 v4, v4, v7
	v_bfi_b32 v6, 0xffff, v5, v4
	v_bfi_b32 v4, 0xffff, v4, v5
	v_pk_mul_f16 v6, v6, 0.5 op_sel_hi:[1,0]
	v_pk_mul_f16 v7, v4, 0.5 op_sel_hi:[1,0]
	s_waitcnt vmcnt(0)
	v_pk_mul_f16 v5, v1, v6 op_sel:[1,0]
	v_pk_mul_f16 v1, v1, v6 op_sel_hi:[0,1]
	v_pk_fma_f16 v4, v4, 0.5, v5 op_sel_hi:[1,0,1]
	v_sub_f16_e32 v6, v7, v5
	v_sub_f16_sdwa v5, v5, v7 dst_sel:DWORD dst_unused:UNUSED_PAD src0_sel:WORD_1 src1_sel:WORD_1
                                        ; implicit-def: $vgpr7
	v_pk_add_f16 v13, v4, v1 op_sel:[0,1] op_sel_hi:[1,0]
	v_pk_add_f16 v15, v4, v1 op_sel:[0,1] op_sel_hi:[1,0] neg_lo:[0,1] neg_hi:[0,1]
	v_sub_f16_sdwa v4, v6, v1 dst_sel:DWORD dst_unused:UNUSED_PAD src0_sel:DWORD src1_sel:WORD_1
	v_sub_f16_e32 v5, v5, v1
	v_bfi_b32 v6, 0xffff, v13, v15
.LBB0_23:
	s_andn2_saveexec_b32 s0, s5
	s_cbranch_execz .LBB0_25
; %bb.24:
	v_mov_b32_e32 v5, 0
	s_waitcnt lgkmcnt(0)
	v_alignbit_b32 v4, s0, v7, 16
	ds_read_u16 v1, v5 offset:2774
	v_pk_add_f16 v6, v4, v7
	v_sub_f16_sdwa v4, v7, v7 dst_sel:DWORD dst_unused:UNUSED_PAD src0_sel:DWORD src1_sel:WORD_1
	v_pack_b32_f16 v6, v6, 0
	s_waitcnt lgkmcnt(0)
	v_xor_b32_e32 v1, 0x8000, v1
	ds_write_b16 v5, v1 offset:2774
.LBB0_25:
	s_or_b32 exec_lo, exec_lo, s0
	v_mov_b32_e32 v15, 0
	v_lshlrev_b64 v[13:14], 2, v[14:15]
	v_mov_b32_e32 v17, v15
	v_add_co_u32 v13, s0, s1, v13
	v_add_co_ci_u32_e64 v14, s0, s4, v14, s0
	global_load_dword v1, v[13:14], off
	v_lshlrev_b64 v[13:14], 2, v[16:17]
	v_add_co_u32 v13, s0, s1, v13
	v_add_co_ci_u32_e64 v14, s0, s4, v14, s0
	s_waitcnt lgkmcnt(0)
	global_load_dword v7, v[13:14], off
	ds_write_b16 v3, v5 offset:5546
	ds_write_b32 v30, v6
	ds_write_b16 v3, v4 offset:5544
	ds_read_b32 v4, v2
	ds_read_b32 v5, v3 offset:4620
	s_waitcnt lgkmcnt(0)
	v_pk_add_f16 v6, v4, v5 neg_lo:[0,1] neg_hi:[0,1]
	v_pk_add_f16 v4, v4, v5
	v_bfi_b32 v5, 0xffff, v6, v4
	v_bfi_b32 v4, 0xffff, v4, v6
	v_pk_mul_f16 v5, v5, 0.5 op_sel_hi:[1,0]
	v_pk_mul_f16 v4, v4, 0.5 op_sel_hi:[1,0]
	s_waitcnt vmcnt(1)
	v_pk_fma_f16 v6, v1, v5, v4 op_sel:[1,0,0]
	v_pk_mul_f16 v13, v1, v5 op_sel_hi:[0,1]
	v_pk_fma_f16 v14, v1, v5, v4 op_sel:[1,0,0] neg_lo:[1,0,0] neg_hi:[1,0,0]
	v_pk_fma_f16 v1, v1, v5, v4 op_sel:[1,0,0] neg_lo:[0,0,1] neg_hi:[0,0,1]
	v_pk_add_f16 v4, v6, v13 op_sel:[0,1] op_sel_hi:[1,0]
	v_pk_add_f16 v5, v6, v13 op_sel:[0,1] op_sel_hi:[1,0] neg_lo:[0,1] neg_hi:[0,1]
	v_pk_add_f16 v6, v14, v13 op_sel:[0,1] op_sel_hi:[1,0] neg_lo:[0,1] neg_hi:[0,1]
	;; [unrolled: 1-line block ×3, first 2 shown]
	v_bfi_b32 v4, 0xffff, v4, v5
	v_bfi_b32 v1, 0xffff, v6, v1
	ds_write_b32 v2, v4
	ds_write_b32 v3, v1 offset:4620
	ds_read_b32 v1, v0
	ds_read_b32 v2, v3 offset:3696
	s_waitcnt lgkmcnt(0)
	v_pk_add_f16 v4, v1, v2 neg_lo:[0,1] neg_hi:[0,1]
	v_pk_add_f16 v1, v1, v2
	v_bfi_b32 v2, 0xffff, v4, v1
	v_bfi_b32 v1, 0xffff, v1, v4
	v_pk_mul_f16 v2, v2, 0.5 op_sel_hi:[1,0]
	v_pk_mul_f16 v1, v1, 0.5 op_sel_hi:[1,0]
	s_waitcnt vmcnt(0)
	v_pk_mul_f16 v5, v7, v2 op_sel_hi:[0,1]
	v_pk_fma_f16 v4, v7, v2, v1 op_sel:[1,0,0]
	v_pk_fma_f16 v6, v7, v2, v1 op_sel:[1,0,0] neg_lo:[1,0,0] neg_hi:[1,0,0]
	v_pk_fma_f16 v1, v7, v2, v1 op_sel:[1,0,0] neg_lo:[0,0,1] neg_hi:[0,0,1]
	v_pk_add_f16 v2, v4, v5 op_sel:[0,1] op_sel_hi:[1,0]
	v_pk_add_f16 v4, v4, v5 op_sel:[0,1] op_sel_hi:[1,0] neg_lo:[0,1] neg_hi:[0,1]
	v_pk_add_f16 v6, v6, v5 op_sel:[0,1] op_sel_hi:[1,0] neg_lo:[0,1] neg_hi:[0,1]
	;; [unrolled: 1-line block ×3, first 2 shown]
	v_bfi_b32 v2, 0xffff, v2, v4
	v_bfi_b32 v1, 0xffff, v6, v1
	ds_write_b32 v0, v2
	ds_write_b32 v3, v1 offset:3696
	s_waitcnt lgkmcnt(0)
	s_barrier
	buffer_gl0_inv
	s_and_saveexec_b32 s0, vcc_lo
	s_cbranch_execz .LBB0_28
; %bb.26:
	v_mul_lo_u32 v2, s3, v10
	v_mul_lo_u32 v3, s2, v11
	v_mad_u64_u32 v[0:1], null, s2, v10, 0
	v_lshl_add_u32 v10, v12, 2, 0
	v_mov_b32_e32 v13, v15
	v_add_nc_u32_e32 v14, 0xe7, v12
	ds_read2_b32 v[4:5], v10 offset1:231
	v_add3_u32 v1, v1, v3, v2
	v_lshlrev_b64 v[2:3], 2, v[8:9]
	v_lshlrev_b64 v[6:7], 2, v[12:13]
	;; [unrolled: 1-line block ×3, first 2 shown]
	v_add_nc_u32_e32 v14, 0x1ce, v12
	v_lshlrev_b64 v[0:1], 2, v[0:1]
	v_add_nc_u32_e32 v11, 0x700, v10
	v_add_nc_u32_e32 v10, 0xe40, v10
	v_add_co_u32 v0, vcc_lo, s10, v0
	v_add_co_ci_u32_e32 v1, vcc_lo, s11, v1, vcc_lo
	v_add_co_u32 v0, vcc_lo, v0, v2
	v_add_co_ci_u32_e32 v1, vcc_lo, v1, v3, vcc_lo
	;; [unrolled: 2-line block ×4, first 2 shown]
	v_lshlrev_b64 v[8:9], 2, v[14:15]
	v_add_nc_u32_e32 v14, 0x2b5, v12
	s_waitcnt lgkmcnt(0)
	global_store_dword v[2:3], v4, off
	global_store_dword v[6:7], v5, off
	ds_read2_b32 v[2:3], v11 offset0:14 offset1:245
	ds_read2_b32 v[6:7], v10 offset0:12 offset1:243
	v_lshlrev_b64 v[4:5], 2, v[14:15]
	v_add_nc_u32_e32 v14, 0x39c, v12
	v_add_co_u32 v8, vcc_lo, v0, v8
	v_add_co_ci_u32_e32 v9, vcc_lo, v1, v9, vcc_lo
	v_lshlrev_b64 v[10:11], 2, v[14:15]
	v_add_nc_u32_e32 v14, 0x483, v12
	v_add_co_u32 v4, vcc_lo, v0, v4
	v_add_co_ci_u32_e32 v5, vcc_lo, v1, v5, vcc_lo
	v_lshlrev_b64 v[13:14], 2, v[14:15]
	v_add_co_u32 v10, vcc_lo, v0, v10
	v_add_co_ci_u32_e32 v11, vcc_lo, v1, v11, vcc_lo
	v_add_co_u32 v13, vcc_lo, v0, v13
	v_add_co_ci_u32_e32 v14, vcc_lo, v1, v14, vcc_lo
	v_cmp_eq_u32_e32 vcc_lo, 0xe6, v12
	s_waitcnt lgkmcnt(1)
	global_store_dword v[8:9], v2, off
	global_store_dword v[4:5], v3, off
	s_waitcnt lgkmcnt(0)
	global_store_dword v[10:11], v6, off
	global_store_dword v[13:14], v7, off
	s_and_b32 exec_lo, exec_lo, vcc_lo
	s_cbranch_execz .LBB0_28
; %bb.27:
	v_mov_b32_e32 v2, 0
	v_add_co_u32 v0, vcc_lo, 0x1000, v0
	v_add_co_ci_u32_e32 v1, vcc_lo, 0, v1, vcc_lo
	ds_read_b32 v2, v2 offset:5544
	s_waitcnt lgkmcnt(0)
	global_store_dword v[0:1], v2, off offset:1448
.LBB0_28:
	s_endpgm
	.section	.rodata,"a",@progbits
	.p2align	6, 0x0
	.amdhsa_kernel fft_rtc_fwd_len1386_factors_2_7_3_11_3_wgs_231_tpt_231_halfLds_half_op_CI_CI_unitstride_sbrr_R2C_dirReg
		.amdhsa_group_segment_fixed_size 0
		.amdhsa_private_segment_fixed_size 0
		.amdhsa_kernarg_size 104
		.amdhsa_user_sgpr_count 6
		.amdhsa_user_sgpr_private_segment_buffer 1
		.amdhsa_user_sgpr_dispatch_ptr 0
		.amdhsa_user_sgpr_queue_ptr 0
		.amdhsa_user_sgpr_kernarg_segment_ptr 1
		.amdhsa_user_sgpr_dispatch_id 0
		.amdhsa_user_sgpr_flat_scratch_init 0
		.amdhsa_user_sgpr_private_segment_size 0
		.amdhsa_wavefront_size32 1
		.amdhsa_uses_dynamic_stack 0
		.amdhsa_system_sgpr_private_segment_wavefront_offset 0
		.amdhsa_system_sgpr_workgroup_id_x 1
		.amdhsa_system_sgpr_workgroup_id_y 0
		.amdhsa_system_sgpr_workgroup_id_z 0
		.amdhsa_system_sgpr_workgroup_info 0
		.amdhsa_system_vgpr_workitem_id 0
		.amdhsa_next_free_vgpr 136
		.amdhsa_next_free_sgpr 27
		.amdhsa_reserve_vcc 1
		.amdhsa_reserve_flat_scratch 0
		.amdhsa_float_round_mode_32 0
		.amdhsa_float_round_mode_16_64 0
		.amdhsa_float_denorm_mode_32 3
		.amdhsa_float_denorm_mode_16_64 3
		.amdhsa_dx10_clamp 1
		.amdhsa_ieee_mode 1
		.amdhsa_fp16_overflow 0
		.amdhsa_workgroup_processor_mode 1
		.amdhsa_memory_ordered 1
		.amdhsa_forward_progress 0
		.amdhsa_shared_vgpr_count 0
		.amdhsa_exception_fp_ieee_invalid_op 0
		.amdhsa_exception_fp_denorm_src 0
		.amdhsa_exception_fp_ieee_div_zero 0
		.amdhsa_exception_fp_ieee_overflow 0
		.amdhsa_exception_fp_ieee_underflow 0
		.amdhsa_exception_fp_ieee_inexact 0
		.amdhsa_exception_int_div_zero 0
	.end_amdhsa_kernel
	.text
.Lfunc_end0:
	.size	fft_rtc_fwd_len1386_factors_2_7_3_11_3_wgs_231_tpt_231_halfLds_half_op_CI_CI_unitstride_sbrr_R2C_dirReg, .Lfunc_end0-fft_rtc_fwd_len1386_factors_2_7_3_11_3_wgs_231_tpt_231_halfLds_half_op_CI_CI_unitstride_sbrr_R2C_dirReg
                                        ; -- End function
	.section	.AMDGPU.csdata,"",@progbits
; Kernel info:
; codeLenInByte = 7800
; NumSgprs: 29
; NumVgprs: 136
; ScratchSize: 0
; MemoryBound: 0
; FloatMode: 240
; IeeeMode: 1
; LDSByteSize: 0 bytes/workgroup (compile time only)
; SGPRBlocks: 3
; VGPRBlocks: 16
; NumSGPRsForWavesPerEU: 29
; NumVGPRsForWavesPerEU: 136
; Occupancy: 7
; WaveLimiterHint : 1
; COMPUTE_PGM_RSRC2:SCRATCH_EN: 0
; COMPUTE_PGM_RSRC2:USER_SGPR: 6
; COMPUTE_PGM_RSRC2:TRAP_HANDLER: 0
; COMPUTE_PGM_RSRC2:TGID_X_EN: 1
; COMPUTE_PGM_RSRC2:TGID_Y_EN: 0
; COMPUTE_PGM_RSRC2:TGID_Z_EN: 0
; COMPUTE_PGM_RSRC2:TIDIG_COMP_CNT: 0
	.text
	.p2alignl 6, 3214868480
	.fill 48, 4, 3214868480
	.type	__hip_cuid_98f2e8d9d6cff33d,@object ; @__hip_cuid_98f2e8d9d6cff33d
	.section	.bss,"aw",@nobits
	.globl	__hip_cuid_98f2e8d9d6cff33d
__hip_cuid_98f2e8d9d6cff33d:
	.byte	0                               ; 0x0
	.size	__hip_cuid_98f2e8d9d6cff33d, 1

	.ident	"AMD clang version 19.0.0git (https://github.com/RadeonOpenCompute/llvm-project roc-6.4.0 25133 c7fe45cf4b819c5991fe208aaa96edf142730f1d)"
	.section	".note.GNU-stack","",@progbits
	.addrsig
	.addrsig_sym __hip_cuid_98f2e8d9d6cff33d
	.amdgpu_metadata
---
amdhsa.kernels:
  - .args:
      - .actual_access:  read_only
        .address_space:  global
        .offset:         0
        .size:           8
        .value_kind:     global_buffer
      - .offset:         8
        .size:           8
        .value_kind:     by_value
      - .actual_access:  read_only
        .address_space:  global
        .offset:         16
        .size:           8
        .value_kind:     global_buffer
      - .actual_access:  read_only
        .address_space:  global
        .offset:         24
        .size:           8
        .value_kind:     global_buffer
      - .actual_access:  read_only
        .address_space:  global
        .offset:         32
        .size:           8
        .value_kind:     global_buffer
      - .offset:         40
        .size:           8
        .value_kind:     by_value
      - .actual_access:  read_only
        .address_space:  global
        .offset:         48
        .size:           8
        .value_kind:     global_buffer
      - .actual_access:  read_only
        .address_space:  global
        .offset:         56
        .size:           8
        .value_kind:     global_buffer
      - .offset:         64
        .size:           4
        .value_kind:     by_value
      - .actual_access:  read_only
        .address_space:  global
        .offset:         72
        .size:           8
        .value_kind:     global_buffer
      - .actual_access:  read_only
        .address_space:  global
        .offset:         80
        .size:           8
        .value_kind:     global_buffer
      - .actual_access:  read_only
        .address_space:  global
        .offset:         88
        .size:           8
        .value_kind:     global_buffer
      - .actual_access:  write_only
        .address_space:  global
        .offset:         96
        .size:           8
        .value_kind:     global_buffer
    .group_segment_fixed_size: 0
    .kernarg_segment_align: 8
    .kernarg_segment_size: 104
    .language:       OpenCL C
    .language_version:
      - 2
      - 0
    .max_flat_workgroup_size: 231
    .name:           fft_rtc_fwd_len1386_factors_2_7_3_11_3_wgs_231_tpt_231_halfLds_half_op_CI_CI_unitstride_sbrr_R2C_dirReg
    .private_segment_fixed_size: 0
    .sgpr_count:     29
    .sgpr_spill_count: 0
    .symbol:         fft_rtc_fwd_len1386_factors_2_7_3_11_3_wgs_231_tpt_231_halfLds_half_op_CI_CI_unitstride_sbrr_R2C_dirReg.kd
    .uniform_work_group_size: 1
    .uses_dynamic_stack: false
    .vgpr_count:     136
    .vgpr_spill_count: 0
    .wavefront_size: 32
    .workgroup_processor_mode: 1
amdhsa.target:   amdgcn-amd-amdhsa--gfx1030
amdhsa.version:
  - 1
  - 2
...

	.end_amdgpu_metadata
